;; amdgpu-corpus repo=ROCm/rocm-libraries kind=compiled arch=gfx90a opt=O3
	.text
	.amdgcn_target "amdgcn-amd-amdhsa--gfx90a"
	.amdhsa_code_object_version 6
	.protected	KthvalueFwd             ; -- Begin function KthvalueFwd
	.globl	KthvalueFwd
	.p2align	8
	.type	KthvalueFwd,@function
KthvalueFwd:                            ; @KthvalueFwd
; %bb.0:
	s_load_dwordx4 s[0:3], s[4:5], 0x30
	s_mov_b32 s7, 0
	s_waitcnt lgkmcnt(0)
	v_mov_b32_e32 v2, s0
	v_mov_b32_e32 v3, s1
	v_cmp_ge_u64_e32 vcc, s[6:7], v[2:3]
	s_cbranch_vccnz .LBB0_68
; %bb.1:
	s_load_dwordx2 s[18:19], s[4:5], 0x70
	s_load_dwordx8 s[24:31], s[4:5], 0x0
	s_load_dwordx4 s[76:79], s[4:5], 0x20
	s_load_dwordx4 s[0:3], s[4:5], 0x60
	s_mov_b64 s[16:17], 0
	s_waitcnt lgkmcnt(0)
	v_pk_mov_b32 v[2:3], s[18:19], s[18:19] op_sel:[0,1]
	v_cmp_lt_u64_e32 vcc, s[6:7], v[2:3]
	s_mov_b64 s[20:21], 0
	s_cbranch_vccnz .LBB0_3
; %bb.2:
	v_cvt_f32_u32_e32 v1, s18
	s_sub_i32 s8, 0, s18
	s_mov_b32 s21, 0
	v_rcp_iflag_f32_e32 v1, v1
	v_mul_f32_e32 v1, 0x4f7ffffe, v1
	v_cvt_u32_f32_e32 v1, v1
	v_readfirstlane_b32 s9, v1
	s_mul_i32 s8, s8, s9
	s_mul_hi_u32 s8, s9, s8
	s_add_i32 s9, s9, s8
	s_mul_hi_u32 s8, s6, s9
	s_mul_i32 s10, s8, s18
	s_sub_i32 s10, s6, s10
	s_add_i32 s9, s8, 1
	s_sub_i32 s11, s10, s18
	s_cmp_ge_u32 s10, s18
	s_cselect_b32 s8, s9, s8
	s_cselect_b32 s10, s11, s10
	s_add_i32 s9, s8, 1
	s_cmp_ge_u32 s10, s18
	s_cselect_b32 s20, s9, s8
.LBB0_3:
	s_load_dwordx2 s[80:81], s[4:5], 0x98
	s_load_dwordx8 s[52:59], s[4:5], 0x78
	v_pk_mov_b32 v[2:3], s[2:3], s[2:3] op_sel:[0,1]
	v_cmp_lt_u64_e32 vcc, s[20:21], v[2:3]
	s_cbranch_vccnz .LBB0_5
; %bb.4:
	v_cvt_f32_u32_e32 v1, s2
	s_sub_i32 s8, 0, s2
	s_mov_b32 s17, 0
	v_rcp_iflag_f32_e32 v1, v1
	v_mul_f32_e32 v1, 0x4f7ffffe, v1
	v_cvt_u32_f32_e32 v1, v1
	v_readfirstlane_b32 s9, v1
	s_mul_i32 s8, s8, s9
	s_mul_hi_u32 s8, s9, s8
	s_add_i32 s9, s9, s8
	s_mul_hi_u32 s8, s20, s9
	s_mul_i32 s10, s8, s2
	s_sub_i32 s10, s20, s10
	s_add_i32 s9, s8, 1
	s_sub_i32 s11, s10, s2
	s_cmp_ge_u32 s10, s2
	s_cselect_b32 s8, s9, s8
	s_cselect_b32 s10, s11, s10
	s_add_i32 s9, s8, 1
	s_cmp_ge_u32 s10, s2
	s_cselect_b32 s16, s9, s8
.LBB0_5:
	s_load_dwordx2 s[34:35], s[4:5], 0xe8
	s_load_dwordx8 s[8:15], s[4:5], 0x38
	v_pk_mov_b32 v[2:3], s[0:1], s[0:1] op_sel:[0,1]
	v_cmp_lt_u64_e32 vcc, s[16:17], v[2:3]
	s_mov_b64 s[22:23], 0
	s_cbranch_vccnz .LBB0_7
; %bb.6:
	v_cvt_f32_u32_e32 v1, s0
	s_sub_i32 s22, 0, s0
	v_rcp_iflag_f32_e32 v1, v1
	v_mul_f32_e32 v1, 0x4f7ffffe, v1
	v_cvt_u32_f32_e32 v1, v1
	v_readfirstlane_b32 s23, v1
	s_mul_i32 s22, s22, s23
	s_mul_hi_u32 s22, s23, s22
	s_add_i32 s23, s23, s22
	s_mul_hi_u32 s22, s16, s23
	s_mul_i32 s33, s22, s0
	s_sub_i32 s33, s16, s33
	s_add_i32 s23, s22, 1
	s_sub_i32 s36, s33, s0
	s_cmp_ge_u32 s33, s0
	s_cselect_b32 s22, s23, s22
	s_cselect_b32 s33, s36, s33
	s_add_i32 s23, s22, 1
	s_cmp_ge_u32 s33, s0
	s_cselect_b32 s22, s23, s22
.LBB0_7:
	s_load_dwordx16 s[36:51], s[4:5], 0xa8
	s_load_dwordx8 s[60:67], s[4:5], 0xf8
	s_mul_i32 s3, s16, s3
	s_mul_hi_u32 s4, s16, s2
	s_add_i32 s4, s4, s3
	s_mul_i32 s2, s16, s2
	s_sub_u32 s23, s20, s2
	s_mul_i32 s2, s20, s19
	s_mul_hi_u32 s3, s20, s18
	s_subb_u32 s21, s21, s4
	s_add_i32 s3, s3, s2
	s_mul_i32 s2, s20, s18
	s_sub_u32 s18, s6, s2
	s_mul_i32 s1, s22, s1
	s_mul_hi_u32 s2, s22, s0
	s_subb_u32 s19, 0, s3
	s_add_i32 s2, s2, s1
	s_mul_i32 s0, s22, s0
	s_sub_u32 s0, s16, s0
	s_subb_u32 s1, s17, s2
	s_waitcnt lgkmcnt(0)
	s_mul_i32 s4, s0, s11
	s_mul_hi_u32 s5, s0, s10
	s_add_i32 s4, s5, s4
	s_mul_i32 s1, s1, s10
	s_add_i32 s5, s4, s1
	s_mul_i32 s4, s0, s10
	s_mul_i32 s0, s23, s13
	s_mul_hi_u32 s1, s23, s12
	s_add_i32 s0, s1, s0
	s_mul_i32 s21, s21, s12
	s_mul_i32 s2, s22, s9
	s_mul_hi_u32 s3, s22, s8
	s_add_i32 s9, s0, s21
	s_mul_i32 s0, s18, s15
	s_mul_hi_u32 s1, s18, s14
	s_add_i32 s3, s3, s2
	s_mul_i32 s2, s22, s8
	s_mul_i32 s8, s23, s12
	s_add_i32 s0, s1, s0
	s_mul_i32 s19, s19, s14
	s_add_i32 s11, s0, s19
	s_lshl_b64 s[8:9], s[8:9], 2
	s_mul_i32 s10, s18, s14
	s_add_u32 s12, s24, s8
	s_addc_u32 s13, s25, s9
	s_lshl_b64 s[8:9], s[10:11], 2
	s_add_u32 s8, s12, s8
	s_addc_u32 s9, s13, s9
	s_lshl_b64 s[4:5], s[4:5], 2
	;; [unrolled: 3-line block ×3, first 2 shown]
	v_mov_b32_e32 v1, 0
	s_add_u32 s33, s4, s2
	s_movk_i32 s2, 0x80
	v_pk_mov_b32 v[10:11], v[0:1], v[0:1] op_sel:[0,1]
	v_cmp_gt_u64_e64 s[0:1], s[76:77], v[0:1]
	s_addc_u32 s90, s5, s3
	v_lshlrev_b32_e32 v14, 5, v0
	v_cmp_gt_u32_e64 s[2:3], s2, v0
	v_cmp_gt_u32_e64 s[4:5], 64, v0
	;; [unrolled: 1-line block ×7, first 2 shown]
	s_mov_b32 s68, 0
	v_cmp_eq_u32_e64 s[10:11], 0, v0
	s_mov_b32 s91, 30
	v_bfrev_b32_e32 v15, 1
	s_mov_b32 s92, 0
	s_mov_b32 s93, 0
                                        ; implicit-def: $sgpr82_sgpr83
                                        ; implicit-def: $sgpr84_sgpr85
	s_branch .LBB0_9
.LBB0_8:                                ;   in Loop: Header=BB0_9 Depth=1
	s_add_i32 s22, s91, -2
	s_cmp_eq_u32 s91, 0
	s_cselect_b64 s[20:21], -1, 0
	s_or_b64 s[20:21], s[24:25], s[20:21]
	s_andn2_b64 vcc, exec, s[20:21]
	s_mov_b32 s92, s69
	s_mov_b32 s93, s70
	;; [unrolled: 1-line block ×3, first 2 shown]
	s_cbranch_vccz .LBB0_50
.LBB0_9:                                ; =>This Loop Header: Depth=1
                                        ;     Child Loop BB0_12 Depth 2
                                        ;     Child Loop BB0_44 Depth 2
	v_pk_mov_b32 v[2:3], 0, 0
	s_mov_b64 s[88:89], 0
	v_pk_mov_b32 v[4:5], v[2:3], v[2:3] op_sel:[0,1]
	v_pk_mov_b32 v[6:7], v[2:3], v[2:3] op_sel:[0,1]
	;; [unrolled: 1-line block ×3, first 2 shown]
	s_and_saveexec_b64 s[86:87], s[0:1]
	s_cbranch_execz .LBB0_15
; %bb.10:                               ;   in Loop: Header=BB0_9 Depth=1
	s_mov_b32 s69, s68
	s_mov_b32 s70, s68
	;; [unrolled: 1-line block ×7, first 2 shown]
	v_pk_mov_b32 v[2:3], s[68:69], s[68:69] op_sel:[0,1]
	v_pk_mov_b32 v[4:5], s[70:71], s[70:71] op_sel:[0,1]
	v_pk_mov_b32 v[6:7], s[72:73], s[72:73] op_sel:[0,1]
	v_pk_mov_b32 v[8:9], s[74:75], s[74:75] op_sel:[0,1]
	v_pk_mov_b32 v[12:13], v[10:11], v[10:11] op_sel:[0,1]
	s_branch .LBB0_12
.LBB0_11:                               ;   in Loop: Header=BB0_12 Depth=2
	s_or_b64 exec, exec, s[70:71]
	v_add_co_u32_e32 v12, vcc, 0x100, v12
	v_addc_co_u32_e32 v13, vcc, 0, v13, vcc
	v_cmp_le_u64_e32 vcc, s[76:77], v[12:13]
	s_or_b64 s[88:89], vcc, s[88:89]
	s_andn2_b64 exec, exec, s[88:89]
	s_cbranch_execz .LBB0_14
.LBB0_12:                               ;   Parent Loop BB0_9 Depth=1
                                        ; =>  This Inner Loop Header: Depth=2
	v_mul_lo_u32 v0, v13, s78
	v_mul_lo_u32 v18, v12, s79
	v_mad_u64_u32 v[16:17], s[20:21], v12, s78, 0
	v_add3_u32 v17, v17, v18, v0
	v_lshlrev_b64 v[16:17], 2, v[16:17]
	v_mov_b32_e32 v0, s90
	v_add_co_u32_e32 v16, vcc, s33, v16
	v_addc_co_u32_e32 v17, vcc, v0, v17, vcc
	global_load_dword v0, v[16:17], off
	s_waitcnt vmcnt(0)
	v_cmp_lt_i32_e32 vcc, -1, v0
	v_cndmask_b32_e32 v16, -1, v15, vcc
	v_xor_b32_e32 v16, v16, v0
	v_cmp_o_f32_e32 vcc, v0, v0
	v_cndmask_b32_e32 v0, -1, v16, vcc
	v_and_b32_e32 v16, s92, v0
	v_cmp_eq_u32_e32 vcc, s93, v16
	s_and_saveexec_b64 s[70:71], vcc
	s_cbranch_execz .LBB0_11
; %bb.13:                               ;   in Loop: Header=BB0_12 Depth=2
	v_bfe_u32 v0, v0, s91, 2
	v_cmp_eq_u32_e32 vcc, 1, v0
	v_cmp_eq_u32_e64 s[20:21], 2, v0
	v_cndmask_b32_e32 v17, v2, v4, vcc
	v_cndmask_b32_e32 v16, v3, v5, vcc
	v_cmp_eq_u32_e64 s[22:23], 3, v0
	v_cndmask_b32_e64 v17, v17, v6, s[20:21]
	v_cndmask_b32_e64 v16, v16, v7, s[20:21]
	v_cndmask_b32_e64 v17, v17, v8, s[22:23]
	v_cndmask_b32_e64 v16, v16, v9, s[22:23]
	v_add_co_u32_e64 v17, s[24:25], 1, v17
	v_addc_co_u32_e64 v16, s[24:25], 0, v16, s[24:25]
	v_cndmask_b32_e32 v5, v5, v16, vcc
	v_cndmask_b32_e32 v4, v4, v17, vcc
	v_cmp_eq_u32_e32 vcc, 0, v0
	v_cndmask_b32_e64 v9, v9, v16, s[22:23]
	v_cndmask_b32_e64 v8, v8, v17, s[22:23]
	v_cndmask_b32_e64 v7, v7, v16, s[20:21]
	v_cndmask_b32_e64 v6, v6, v17, s[20:21]
	v_cndmask_b32_e32 v3, v3, v16, vcc
	v_cndmask_b32_e32 v2, v2, v17, vcc
	s_branch .LBB0_11
.LBB0_14:                               ;   in Loop: Header=BB0_9 Depth=1
	s_or_b64 exec, exec, s[88:89]
.LBB0_15:                               ;   in Loop: Header=BB0_9 Depth=1
	s_or_b64 exec, exec, s[86:87]
	ds_write_b128 v14, v[2:5]
	ds_write_b128 v14, v[6:9] offset:16
	s_waitcnt lgkmcnt(0)
	s_barrier
	s_and_saveexec_b64 s[20:21], s[2:3]
	s_cbranch_execz .LBB0_17
; %bb.16:                               ;   in Loop: Header=BB0_9 Depth=1
	ds_read_b128 v[2:5], v14 offset:4096
	ds_read_b128 v[6:9], v14
	ds_read_b128 v[16:19], v14 offset:16
	ds_read_b128 v[20:23], v14 offset:4112
	s_waitcnt lgkmcnt(2)
	v_add_co_u32_e32 v2, vcc, v6, v2
	v_addc_co_u32_e32 v3, vcc, v7, v3, vcc
	v_add_co_u32_e32 v4, vcc, v8, v4
	v_addc_co_u32_e32 v5, vcc, v9, v5, vcc
	ds_write_b128 v14, v[2:5]
	s_waitcnt lgkmcnt(1)
	v_add_co_u32_e32 v2, vcc, v16, v20
	v_addc_co_u32_e32 v3, vcc, v17, v21, vcc
	v_add_co_u32_e32 v4, vcc, v18, v22
	v_addc_co_u32_e32 v5, vcc, v19, v23, vcc
	ds_write_b128 v14, v[2:5] offset:16
.LBB0_17:                               ;   in Loop: Header=BB0_9 Depth=1
	s_or_b64 exec, exec, s[20:21]
	s_waitcnt lgkmcnt(0)
	s_barrier
	s_and_saveexec_b64 s[20:21], s[4:5]
	s_cbranch_execz .LBB0_19
; %bb.18:                               ;   in Loop: Header=BB0_9 Depth=1
	ds_read_b128 v[2:5], v14 offset:2048
	ds_read_b128 v[6:9], v14
	ds_read_b128 v[16:19], v14 offset:16
	ds_read_b128 v[20:23], v14 offset:2064
	s_waitcnt lgkmcnt(2)
	v_add_co_u32_e32 v2, vcc, v6, v2
	v_addc_co_u32_e32 v3, vcc, v7, v3, vcc
	v_add_co_u32_e32 v4, vcc, v8, v4
	v_addc_co_u32_e32 v5, vcc, v9, v5, vcc
	ds_write_b128 v14, v[2:5]
	s_waitcnt lgkmcnt(1)
	v_add_co_u32_e32 v2, vcc, v16, v20
	v_addc_co_u32_e32 v3, vcc, v17, v21, vcc
	v_add_co_u32_e32 v4, vcc, v18, v22
	v_addc_co_u32_e32 v5, vcc, v19, v23, vcc
	ds_write_b128 v14, v[2:5] offset:16
.LBB0_19:                               ;   in Loop: Header=BB0_9 Depth=1
	s_or_b64 exec, exec, s[20:21]
	;; [unrolled: 23-line block ×7, first 2 shown]
	s_waitcnt lgkmcnt(0)
	s_barrier
	s_and_saveexec_b64 s[20:21], s[10:11]
	s_cbranch_execz .LBB0_31
; %bb.30:                               ;   in Loop: Header=BB0_9 Depth=1
	ds_read_b128 v[2:5], v14
	ds_read_b128 v[6:9], v1 offset:32
	ds_read_b128 v[16:19], v1 offset:48
	;; [unrolled: 1-line block ×3, first 2 shown]
	s_waitcnt lgkmcnt(2)
	v_add_co_u32_e32 v2, vcc, v2, v6
	v_addc_co_u32_e32 v3, vcc, v3, v7, vcc
	v_add_co_u32_e32 v4, vcc, v4, v8
	v_addc_co_u32_e32 v5, vcc, v5, v9, vcc
	ds_write_b128 v14, v[2:5]
	s_waitcnt lgkmcnt(1)
	v_add_co_u32_e32 v2, vcc, v20, v16
	v_addc_co_u32_e32 v3, vcc, v21, v17, vcc
	v_add_co_u32_e32 v4, vcc, v22, v18
	v_addc_co_u32_e32 v5, vcc, v23, v19, vcc
	ds_write_b128 v14, v[2:5] offset:16
.LBB0_31:                               ;   in Loop: Header=BB0_9 Depth=1
	s_or_b64 exec, exec, s[20:21]
	s_waitcnt lgkmcnt(0)
	s_barrier
	ds_read_b128 v[2:5], v1
	ds_read_b128 v[6:9], v1 offset:16
	s_waitcnt lgkmcnt(0)
	s_barrier
	v_readfirstlane_b32 s75, v3
	v_readfirstlane_b32 s74, v2
	v_pk_mov_b32 v[2:3], s[74:75], s[74:75] op_sel:[0,1]
	v_cmp_le_u64_e64 s[24:25], s[30:31], v[2:3]
	v_readfirstlane_b32 s72, v4
	v_readfirstlane_b32 s73, v5
	v_readfirstlane_b32 s70, v6
	v_readfirstlane_b32 s71, v7
	v_readfirstlane_b32 s86, v8
	v_readfirstlane_b32 s87, v9
	s_and_b64 vcc, exec, s[24:25]
	s_cbranch_vccnz .LBB0_35
; %bb.32:                               ;   in Loop: Header=BB0_9 Depth=1
	s_sub_u32 s30, s30, s74
	s_subb_u32 s31, s31, s75
	v_pk_mov_b32 v[2:3], s[72:73], s[72:73] op_sel:[0,1]
	v_cmp_gt_u64_e32 vcc, s[30:31], v[2:3]
	v_cmp_le_u64_e64 s[24:25], s[30:31], v[2:3]
	s_cbranch_vccz .LBB0_36
; %bb.33:                               ;   in Loop: Header=BB0_9 Depth=1
	s_sub_u32 s30, s30, s72
	s_subb_u32 s31, s31, s73
	v_pk_mov_b32 v[2:3], s[70:71], s[70:71] op_sel:[0,1]
	v_cmp_gt_u64_e32 vcc, s[30:31], v[2:3]
	v_cmp_le_u64_e64 s[24:25], s[30:31], v[2:3]
	s_cbranch_vccz .LBB0_37
; %bb.34:                               ;   in Loop: Header=BB0_9 Depth=1
	s_sub_u32 s82, s30, s70
	s_subb_u32 s83, s31, s71
	v_pk_mov_b32 v[2:3], s[86:87], s[86:87] op_sel:[0,1]
	v_cmp_le_u64_e64 s[24:25], s[82:83], v[2:3]
	s_mov_b64 s[20:21], -1
	s_mov_b64 s[22:23], 3
	s_mov_b64 s[84:85], s[86:87]
	;; [unrolled: 1-line block ×6, first 2 shown]
	s_and_b64 vcc, exec, s[24:25]
                                        ; implicit-def: $sgpr69
                                        ; implicit-def: $sgpr24_sgpr25
                                        ; implicit-def: $sgpr70
	s_cbranch_vccz .LBB0_48
	s_branch .LBB0_38
.LBB0_35:                               ;   in Loop: Header=BB0_9 Depth=1
	s_mov_b64 s[20:21], 0
	s_mov_b64 s[22:23], 0
	s_and_b64 vcc, exec, s[24:25]
                                        ; implicit-def: $sgpr69
                                        ; implicit-def: $sgpr24_sgpr25
                                        ; implicit-def: $sgpr70
	s_cbranch_vccz .LBB0_48
	s_branch .LBB0_38
.LBB0_36:                               ;   in Loop: Header=BB0_9 Depth=1
	s_mov_b64 s[20:21], 0
	s_mov_b64 s[22:23], 1
	s_mov_b64 s[74:75], s[72:73]
	s_and_b64 vcc, exec, s[24:25]
                                        ; implicit-def: $sgpr69
                                        ; implicit-def: $sgpr24_sgpr25
                                        ; implicit-def: $sgpr70
	s_cbranch_vccz .LBB0_48
	s_branch .LBB0_38
.LBB0_37:                               ;   in Loop: Header=BB0_9 Depth=1
	s_mov_b64 s[20:21], 0
	s_mov_b64 s[22:23], 2
	;; [unrolled: 1-line block ×4, first 2 shown]
	s_and_b64 vcc, exec, s[24:25]
                                        ; implicit-def: $sgpr69
                                        ; implicit-def: $sgpr24_sgpr25
                                        ; implicit-def: $sgpr70
	s_cbranch_vccz .LBB0_48
.LBB0_38:                               ;   in Loop: Header=BB0_9 Depth=1
	s_cmp_lg_u64 s[74:75], 1
	s_cselect_b64 s[20:21], -1, 0
	s_cmp_lg_u32 s91, 0
	s_cselect_b64 s[24:25], -1, 0
	s_and_b64 s[20:21], s[24:25], s[20:21]
	s_mov_b64 s[24:25], -1
	s_and_b64 vcc, exec, s[20:21]
                                        ; implicit-def: $sgpr69
                                        ; implicit-def: $sgpr70
	s_cbranch_vccz .LBB0_40
; %bb.39:                               ;   in Loop: Header=BB0_9 Depth=1
	s_lshl_b32 s20, s22, s91
	s_or_b32 s70, s20, s93
	s_lshl_b32 s20, 3, s91
	s_or_b32 s69, s20, s92
	s_mov_b64 s[24:25], 0
.LBB0_40:                               ;   in Loop: Header=BB0_9 Depth=1
	s_andn2_b64 vcc, exec, s[24:25]
	s_cbranch_vccnz .LBB0_47
; %bb.41:                               ;   in Loop: Header=BB0_9 Depth=1
	s_and_saveexec_b64 s[24:25], s[0:1]
	s_cbranch_execz .LBB0_46
; %bb.42:                               ;   in Loop: Header=BB0_9 Depth=1
	s_mov_b64 s[70:71], 0
	v_pk_mov_b32 v[2:3], v[10:11], v[10:11] op_sel:[0,1]
	s_branch .LBB0_44
.LBB0_43:                               ;   in Loop: Header=BB0_44 Depth=2
	s_or_b64 exec, exec, s[20:21]
	v_add_co_u32_e32 v2, vcc, 0x100, v2
	v_addc_co_u32_e32 v3, vcc, 0, v3, vcc
	v_cmp_le_u64_e32 vcc, s[76:77], v[2:3]
	s_or_b64 s[70:71], vcc, s[70:71]
	s_andn2_b64 exec, exec, s[70:71]
	s_cbranch_execz .LBB0_46
.LBB0_44:                               ;   Parent Loop BB0_9 Depth=1
                                        ; =>  This Inner Loop Header: Depth=2
	v_mul_lo_u32 v0, v3, s78
	v_mul_lo_u32 v6, v2, s79
	v_mad_u64_u32 v[4:5], s[20:21], v2, s78, 0
	v_add3_u32 v5, v5, v6, v0
	v_lshlrev_b64 v[4:5], 2, v[4:5]
	v_mov_b32_e32 v0, s90
	v_add_co_u32_e32 v4, vcc, s33, v4
	v_addc_co_u32_e32 v5, vcc, v0, v5, vcc
	global_load_dword v4, v[4:5], off
	s_waitcnt vmcnt(0)
	v_cmp_lt_i32_e32 vcc, -1, v4
	v_cndmask_b32_e32 v0, -1, v15, vcc
	v_xor_b32_e32 v0, v0, v4
	v_cmp_o_f32_e32 vcc, v4, v4
	v_cndmask_b32_e32 v0, -1, v0, vcc
	v_and_b32_e32 v5, s92, v0
	v_bfe_u32 v0, v0, s91, 2
	v_cmp_eq_u32_e32 vcc, s93, v5
	v_cmp_eq_u64_e64 s[20:21], s[22:23], v[0:1]
	s_and_b64 s[72:73], vcc, s[20:21]
	s_and_saveexec_b64 s[20:21], s[72:73]
	s_cbranch_execz .LBB0_43
; %bb.45:                               ;   in Loop: Header=BB0_44 Depth=2
	ds_write_b32 v1, v4 offset:8200
	ds_write_b64 v1, v[2:3] offset:8192
	s_branch .LBB0_43
.LBB0_46:                               ;   in Loop: Header=BB0_9 Depth=1
	s_or_b64 exec, exec, s[24:25]
	s_mov_b64 s[24:25], -1
	s_mov_b32 s69, s92
	s_mov_b32 s70, s93
.LBB0_47:                               ;   in Loop: Header=BB0_9 Depth=1
	s_mov_b64 s[20:21], 0
.LBB0_48:                               ;   in Loop: Header=BB0_9 Depth=1
	s_andn2_b64 vcc, exec, s[20:21]
	s_cbranch_vccnz .LBB0_8
; %bb.49:                               ;   in Loop: Header=BB0_9 Depth=1
	s_sub_u32 s30, s82, s84
	s_subb_u32 s31, s83, s85
	s_mov_b64 s[24:25], 0
	s_mov_b32 s70, s93
	s_mov_b32 s69, s92
	s_branch .LBB0_8
.LBB0_50:
	s_waitcnt lgkmcnt(0)
	s_barrier
	s_and_saveexec_b64 s[0:1], s[10:11]
	s_cbranch_execz .LBB0_68
; %bb.51:
	v_pk_mov_b32 v[0:1], s[42:43], s[42:43] op_sel:[0,1]
	v_cmp_lt_u64_e32 vcc, s[6:7], v[0:1]
	s_mov_b64 s[2:3], 0
	s_mov_b64 s[0:1], 0
	s_cbranch_vccnz .LBB0_53
; %bb.52:
	v_cvt_f32_u32_e32 v0, s42
	s_sub_i32 s0, 0, s42
	s_mov_b32 s1, 0
	v_rcp_iflag_f32_e32 v0, v0
	v_mul_f32_e32 v0, 0x4f7ffffe, v0
	v_cvt_u32_f32_e32 v0, v0
	v_readfirstlane_b32 s4, v0
	s_mul_i32 s0, s0, s4
	s_mul_hi_u32 s0, s4, s0
	s_add_i32 s4, s4, s0
	s_mul_hi_u32 s0, s6, s4
	s_mul_i32 s5, s0, s42
	s_sub_i32 s5, s6, s5
	s_add_i32 s4, s0, 1
	s_sub_i32 s8, s5, s42
	s_cmp_ge_u32 s5, s42
	s_cselect_b32 s0, s4, s0
	s_cselect_b32 s5, s8, s5
	s_add_i32 s4, s0, 1
	s_cmp_ge_u32 s5, s42
	s_cselect_b32 s0, s4, s0
.LBB0_53:
	v_pk_mov_b32 v[0:1], s[40:41], s[40:41] op_sel:[0,1]
	v_cmp_lt_u64_e32 vcc, s[0:1], v[0:1]
	s_cbranch_vccnz .LBB0_55
; %bb.54:
	v_cvt_f32_u32_e32 v0, s40
	s_sub_i32 s2, 0, s40
	s_mov_b32 s3, 0
	v_rcp_iflag_f32_e32 v0, v0
	v_mul_f32_e32 v0, 0x4f7ffffe, v0
	v_cvt_u32_f32_e32 v0, v0
	v_readfirstlane_b32 s4, v0
	s_mul_i32 s2, s2, s4
	s_mul_hi_u32 s2, s4, s2
	s_add_i32 s4, s4, s2
	s_mul_hi_u32 s2, s0, s4
	s_mul_i32 s5, s2, s40
	s_sub_i32 s5, s0, s5
	s_add_i32 s4, s2, 1
	s_sub_i32 s8, s5, s40
	s_cmp_ge_u32 s5, s40
	s_cselect_b32 s2, s4, s2
	s_cselect_b32 s5, s8, s5
	s_add_i32 s4, s2, 1
	s_cmp_ge_u32 s5, s40
	s_cselect_b32 s2, s4, s2
.LBB0_55:
	v_pk_mov_b32 v[0:1], s[38:39], s[38:39] op_sel:[0,1]
	v_cmp_lt_u64_e32 vcc, s[2:3], v[0:1]
	s_mov_b64 s[4:5], 0
	s_mov_b64 s[8:9], 0
	s_cbranch_vccnz .LBB0_57
; %bb.56:
	v_cvt_f32_u32_e32 v0, s38
	s_sub_i32 s5, 0, s38
	s_mov_b32 s9, 0
	v_rcp_iflag_f32_e32 v0, v0
	v_mul_f32_e32 v0, 0x4f7ffffe, v0
	v_cvt_u32_f32_e32 v0, v0
	v_readfirstlane_b32 s8, v0
	s_mul_i32 s5, s5, s8
	s_mul_hi_u32 s5, s8, s5
	s_add_i32 s8, s8, s5
	s_mul_hi_u32 s5, s2, s8
	s_mul_i32 s10, s5, s38
	s_sub_i32 s10, s2, s10
	s_add_i32 s8, s5, 1
	s_sub_i32 s11, s10, s38
	s_cmp_ge_u32 s10, s38
	s_cselect_b32 s5, s8, s5
	s_cselect_b32 s10, s11, s10
	s_add_i32 s8, s5, 1
	s_cmp_ge_u32 s10, s38
	s_cselect_b32 s8, s8, s5
.LBB0_57:
	v_pk_mov_b32 v[0:1], s[36:37], s[36:37] op_sel:[0,1]
	v_cmp_lt_u64_e32 vcc, s[8:9], v[0:1]
	s_cbranch_vccnz .LBB0_59
; %bb.58:
	v_cvt_f32_u32_e32 v0, s36
	s_sub_i32 s4, 0, s36
	v_rcp_iflag_f32_e32 v0, v0
	v_mul_f32_e32 v0, 0x4f7ffffe, v0
	v_cvt_u32_f32_e32 v0, v0
	v_readfirstlane_b32 s5, v0
	s_mul_i32 s4, s4, s5
	s_mul_hi_u32 s4, s5, s4
	s_add_i32 s5, s5, s4
	s_mul_hi_u32 s4, s8, s5
	s_mul_i32 s10, s4, s36
	s_sub_i32 s10, s8, s10
	s_add_i32 s5, s4, 1
	s_sub_i32 s11, s10, s36
	s_cmp_ge_u32 s10, s36
	s_cselect_b32 s4, s5, s4
	s_cselect_b32 s10, s11, s10
	s_add_i32 s5, s4, 1
	s_cmp_ge_u32 s10, s36
	s_cselect_b32 s4, s5, s4
.LBB0_59:
	v_pk_mov_b32 v[0:1], s[66:67], s[66:67] op_sel:[0,1]
	v_cmp_lt_u64_e32 vcc, s[6:7], v[0:1]
	s_mov_b64 s[14:15], 0
	s_mov_b64 s[12:13], 0
	s_cbranch_vccnz .LBB0_61
; %bb.60:
	v_cvt_f32_u32_e32 v0, s66
	s_sub_i32 s5, 0, s66
	s_mov_b32 s13, 0
	v_rcp_iflag_f32_e32 v0, v0
	v_mul_f32_e32 v0, 0x4f7ffffe, v0
	v_cvt_u32_f32_e32 v0, v0
	v_readfirstlane_b32 s7, v0
	s_mul_i32 s5, s5, s7
	s_mul_hi_u32 s5, s7, s5
	s_add_i32 s7, s7, s5
	s_mul_hi_u32 s5, s6, s7
	s_mul_i32 s10, s5, s66
	s_sub_i32 s10, s6, s10
	s_add_i32 s7, s5, 1
	s_sub_i32 s11, s10, s66
	s_cmp_ge_u32 s10, s66
	s_cselect_b32 s5, s7, s5
	s_cselect_b32 s10, s11, s10
	s_add_i32 s7, s5, 1
	s_cmp_ge_u32 s10, s66
	s_cselect_b32 s12, s7, s5
.LBB0_61:
	v_pk_mov_b32 v[0:1], s[64:65], s[64:65] op_sel:[0,1]
	v_cmp_lt_u64_e32 vcc, s[12:13], v[0:1]
	s_cbranch_vccnz .LBB0_63
; %bb.62:
	v_cvt_f32_u32_e32 v0, s64
	s_sub_i32 s5, 0, s64
	s_mov_b32 s15, 0
	v_rcp_iflag_f32_e32 v0, v0
	v_mul_f32_e32 v0, 0x4f7ffffe, v0
	v_cvt_u32_f32_e32 v0, v0
	v_readfirstlane_b32 s7, v0
	s_mul_i32 s5, s5, s7
	s_mul_hi_u32 s5, s7, s5
	s_add_i32 s7, s7, s5
	s_mul_hi_u32 s5, s12, s7
	s_mul_i32 s10, s5, s64
	s_sub_i32 s10, s12, s10
	s_add_i32 s7, s5, 1
	s_sub_i32 s11, s10, s64
	s_cmp_ge_u32 s10, s64
	s_cselect_b32 s5, s7, s5
	s_cselect_b32 s10, s11, s10
	s_add_i32 s7, s5, 1
	s_cmp_ge_u32 s10, s64
	s_cselect_b32 s14, s7, s5
.LBB0_63:
	v_pk_mov_b32 v[0:1], s[62:63], s[62:63] op_sel:[0,1]
	v_cmp_lt_u64_e32 vcc, s[14:15], v[0:1]
	s_mov_b64 s[10:11], 0
	s_mov_b64 s[16:17], 0
	s_cbranch_vccnz .LBB0_65
; %bb.64:
	v_cvt_f32_u32_e32 v0, s62
	s_sub_i32 s5, 0, s62
	s_mov_b32 s17, 0
	v_rcp_iflag_f32_e32 v0, v0
	v_mul_f32_e32 v0, 0x4f7ffffe, v0
	v_cvt_u32_f32_e32 v0, v0
	v_readfirstlane_b32 s7, v0
	s_mul_i32 s5, s5, s7
	s_mul_hi_u32 s5, s7, s5
	s_add_i32 s7, s7, s5
	s_mul_hi_u32 s5, s14, s7
	s_mul_i32 s11, s5, s62
	s_sub_i32 s11, s14, s11
	s_add_i32 s7, s5, 1
	s_sub_i32 s16, s11, s62
	s_cmp_ge_u32 s11, s62
	s_cselect_b32 s5, s7, s5
	s_cselect_b32 s11, s16, s11
	s_add_i32 s7, s5, 1
	s_cmp_ge_u32 s11, s62
	s_cselect_b32 s16, s7, s5
.LBB0_65:
	v_pk_mov_b32 v[0:1], s[60:61], s[60:61] op_sel:[0,1]
	v_cmp_lt_u64_e32 vcc, s[16:17], v[0:1]
	s_cbranch_vccnz .LBB0_67
; %bb.66:
	v_cvt_f32_u32_e32 v0, s60
	s_sub_i32 s5, 0, s60
	v_rcp_iflag_f32_e32 v0, v0
	v_mul_f32_e32 v0, 0x4f7ffffe, v0
	v_cvt_u32_f32_e32 v0, v0
	v_readfirstlane_b32 s7, v0
	s_mul_i32 s5, s5, s7
	s_mul_hi_u32 s5, s7, s5
	s_add_i32 s7, s7, s5
	s_mul_hi_u32 s5, s16, s7
	s_mul_i32 s10, s5, s60
	s_sub_i32 s10, s16, s10
	s_add_i32 s7, s5, 1
	s_sub_i32 s11, s10, s60
	s_cmp_ge_u32 s10, s60
	s_cselect_b32 s5, s7, s5
	s_cselect_b32 s10, s11, s10
	s_add_i32 s7, s5, 1
	s_cmp_ge_u32 s10, s60
	s_cselect_b32 s10, s7, s5
.LBB0_67:
	s_mul_i32 s5, s16, s63
	s_mul_hi_u32 s7, s16, s62
	s_add_i32 s7, s7, s5
	s_mul_i32 s5, s16, s62
	s_sub_u32 s11, s14, s5
	s_subb_u32 s15, s15, s7
	s_mul_i32 s5, s14, s65
	s_mul_hi_u32 s7, s14, s64
	s_add_i32 s7, s7, s5
	s_mul_i32 s5, s14, s64
	s_sub_u32 s14, s12, s5
	s_subb_u32 s13, s13, s7
	s_mul_i32 s5, s12, s67
	s_mul_hi_u32 s7, s12, s66
	s_add_i32 s7, s7, s5
	s_mul_i32 s5, s12, s66
	s_sub_u32 s12, s6, s5
	s_subb_u32 s18, 0, s7
	s_mul_i32 s5, s4, s37
	s_mul_hi_u32 s7, s4, s36
	s_add_i32 s7, s7, s5
	s_mul_i32 s5, s4, s36
	s_sub_u32 s5, s8, s5
	s_subb_u32 s7, s9, s7
	s_mul_i32 s9, s8, s39
	s_mul_hi_u32 s19, s8, s38
	s_add_i32 s19, s19, s9
	s_mul_i32 s8, s8, s38
	s_sub_u32 s8, s2, s8
	s_subb_u32 s9, s3, s19
	s_mul_i32 s3, s2, s41
	s_mul_hi_u32 s19, s2, s40
	s_add_i32 s19, s19, s3
	s_mul_i32 s2, s2, s40
	s_sub_u32 s20, s0, s2
	s_subb_u32 s19, s1, s19
	s_mul_i32 s1, s0, s43
	s_mul_hi_u32 s2, s0, s42
	s_add_i32 s2, s2, s1
	s_mul_i32 s0, s0, s42
	s_sub_u32 s21, s6, s0
	s_mul_i32 s0, s10, s61
	s_mul_hi_u32 s1, s10, s60
	s_subb_u32 s22, 0, s2
	s_add_i32 s1, s1, s0
	s_mul_i32 s0, s10, s60
	s_sub_u32 s16, s16, s0
	s_mul_i32 s2, s5, s55
	s_mul_hi_u32 s3, s5, s54
	s_subb_u32 s17, s17, s1
	s_mul_i32 s0, s4, s53
	s_mul_hi_u32 s1, s4, s52
	s_add_i32 s2, s3, s2
	s_mul_i32 s7, s7, s54
	s_add_i32 s1, s1, s0
	s_mul_i32 s0, s4, s52
	;; [unrolled: 2-line block ×3, first 2 shown]
	s_mul_i32 s4, s8, s57
	s_mul_hi_u32 s5, s8, s56
	s_add_i32 s4, s5, s4
	s_mul_i32 s9, s9, s56
	s_add_i32 s5, s4, s9
	s_mul_i32 s4, s8, s56
	s_mul_i32 s8, s21, s81
	s_mul_hi_u32 s9, s21, s80
	s_mul_i32 s6, s20, s59
	s_mul_hi_u32 s7, s20, s58
	s_add_i32 s8, s9, s8
	s_mul_i32 s22, s22, s80
	s_add_i32 s6, s7, s6
	s_mul_i32 s19, s19, s58
	;; [unrolled: 2-line block ×3, first 2 shown]
	s_add_i32 s7, s6, s19
	s_lshl_b64 s[8:9], s[8:9], 2
	s_mul_i32 s6, s20, s58
	s_add_u32 s8, s26, s8
	s_addc_u32 s9, s27, s9
	s_lshl_b64 s[6:7], s[6:7], 2
	s_add_u32 s6, s8, s6
	s_addc_u32 s7, s9, s7
	s_lshl_b64 s[4:5], s[4:5], 2
	v_mov_b32_e32 v2, 0
	s_add_u32 s4, s6, s4
	ds_read_b64 v[0:1], v2 offset:8192
	ds_read_b32 v3, v2 offset:8200
	s_addc_u32 s5, s7, s5
	s_lshl_b64 s[2:3], s[2:3], 2
	s_add_u32 s2, s4, s2
	s_addc_u32 s3, s5, s3
	s_lshl_b64 s[0:1], s[0:1], 2
	s_add_u32 s0, s2, s0
	s_mul_i32 s8, s12, s35
	s_mul_hi_u32 s9, s12, s34
	s_addc_u32 s1, s3, s1
	s_mul_i32 s2, s16, s47
	s_mul_hi_u32 s3, s16, s46
	s_mul_i32 s4, s11, s49
	s_mul_hi_u32 s5, s11, s48
	;; [unrolled: 2-line block ×3, first 2 shown]
	s_add_i32 s8, s9, s8
	s_mul_i32 s18, s18, s34
	s_waitcnt lgkmcnt(0)
	global_store_dword v2, v3, s[0:1]
	s_mul_i32 s0, s10, s45
	s_mul_hi_u32 s1, s10, s44
	s_add_i32 s2, s3, s2
	s_mul_i32 s17, s17, s46
	s_add_i32 s4, s5, s4
	s_mul_i32 s15, s15, s48
	;; [unrolled: 2-line block ×4, first 2 shown]
	s_add_i32 s1, s1, s0
	s_add_i32 s3, s2, s17
	;; [unrolled: 1-line block ×4, first 2 shown]
	s_lshl_b64 s[8:9], s[8:9], 3
	s_mul_i32 s6, s14, s50
	s_add_u32 s8, s28, s8
	s_addc_u32 s9, s29, s9
	s_lshl_b64 s[6:7], s[6:7], 3
	s_mul_i32 s4, s11, s48
	s_add_u32 s6, s8, s6
	s_addc_u32 s7, s9, s7
	;; [unrolled: 4-line block ×4, first 2 shown]
	s_lshl_b64 s[0:1], s[0:1], 3
	s_add_u32 s0, s2, s0
	s_addc_u32 s1, s3, s1
	global_store_dwordx2 v2, v[0:1], s[0:1]
.LBB0_68:
	s_endpgm
	.section	.rodata,"a",@progbits
	.p2align	6, 0x0
	.amdhsa_kernel KthvalueFwd
		.amdhsa_group_segment_fixed_size 8208
		.amdhsa_private_segment_fixed_size 0
		.amdhsa_kernarg_size 280
		.amdhsa_user_sgpr_count 6
		.amdhsa_user_sgpr_private_segment_buffer 1
		.amdhsa_user_sgpr_dispatch_ptr 0
		.amdhsa_user_sgpr_queue_ptr 0
		.amdhsa_user_sgpr_kernarg_segment_ptr 1
		.amdhsa_user_sgpr_dispatch_id 0
		.amdhsa_user_sgpr_flat_scratch_init 0
		.amdhsa_user_sgpr_kernarg_preload_length 0
		.amdhsa_user_sgpr_kernarg_preload_offset 0
		.amdhsa_user_sgpr_private_segment_size 0
		.amdhsa_uses_dynamic_stack 0
		.amdhsa_system_sgpr_private_segment_wavefront_offset 0
		.amdhsa_system_sgpr_workgroup_id_x 1
		.amdhsa_system_sgpr_workgroup_id_y 0
		.amdhsa_system_sgpr_workgroup_id_z 0
		.amdhsa_system_sgpr_workgroup_info 0
		.amdhsa_system_vgpr_workitem_id 0
		.amdhsa_next_free_vgpr 24
		.amdhsa_next_free_sgpr 94
		.amdhsa_accum_offset 24
		.amdhsa_reserve_vcc 1
		.amdhsa_reserve_flat_scratch 0
		.amdhsa_float_round_mode_32 0
		.amdhsa_float_round_mode_16_64 0
		.amdhsa_float_denorm_mode_32 3
		.amdhsa_float_denorm_mode_16_64 3
		.amdhsa_dx10_clamp 1
		.amdhsa_ieee_mode 1
		.amdhsa_fp16_overflow 0
		.amdhsa_tg_split 0
		.amdhsa_exception_fp_ieee_invalid_op 0
		.amdhsa_exception_fp_denorm_src 0
		.amdhsa_exception_fp_ieee_div_zero 0
		.amdhsa_exception_fp_ieee_overflow 0
		.amdhsa_exception_fp_ieee_underflow 0
		.amdhsa_exception_fp_ieee_inexact 0
		.amdhsa_exception_int_div_zero 0
	.end_amdhsa_kernel
	.text
.Lfunc_end0:
	.size	KthvalueFwd, .Lfunc_end0-KthvalueFwd
                                        ; -- End function
	.section	.AMDGPU.csdata,"",@progbits
; Kernel info:
; codeLenInByte = 4120
; NumSgprs: 98
; NumVgprs: 24
; NumAgprs: 0
; TotalNumVgprs: 24
; ScratchSize: 0
; MemoryBound: 0
; FloatMode: 240
; IeeeMode: 1
; LDSByteSize: 8208 bytes/workgroup (compile time only)
; SGPRBlocks: 12
; VGPRBlocks: 2
; NumSGPRsForWavesPerEU: 98
; NumVGPRsForWavesPerEU: 24
; AccumOffset: 24
; Occupancy: 8
; WaveLimiterHint : 1
; COMPUTE_PGM_RSRC2:SCRATCH_EN: 0
; COMPUTE_PGM_RSRC2:USER_SGPR: 6
; COMPUTE_PGM_RSRC2:TRAP_HANDLER: 0
; COMPUTE_PGM_RSRC2:TGID_X_EN: 1
; COMPUTE_PGM_RSRC2:TGID_Y_EN: 0
; COMPUTE_PGM_RSRC2:TGID_Z_EN: 0
; COMPUTE_PGM_RSRC2:TIDIG_COMP_CNT: 0
; COMPUTE_PGM_RSRC3_GFX90A:ACCUM_OFFSET: 5
; COMPUTE_PGM_RSRC3_GFX90A:TG_SPLIT: 0
	.text
	.p2alignl 6, 3212836864
	.fill 256, 4, 3212836864
	.type	__hip_cuid_dcd926f90d565ebc,@object ; @__hip_cuid_dcd926f90d565ebc
	.section	.bss,"aw",@nobits
	.globl	__hip_cuid_dcd926f90d565ebc
__hip_cuid_dcd926f90d565ebc:
	.byte	0                               ; 0x0
	.size	__hip_cuid_dcd926f90d565ebc, 1

	.ident	"AMD clang version 19.0.0git (https://github.com/RadeonOpenCompute/llvm-project roc-6.4.0 25133 c7fe45cf4b819c5991fe208aaa96edf142730f1d)"
	.section	".note.GNU-stack","",@progbits
	.addrsig
	.addrsig_sym __hip_cuid_dcd926f90d565ebc
	.amdgpu_metadata
---
amdhsa.kernels:
  - .agpr_count:     0
    .args:
      - .address_space:  global
        .offset:         0
        .size:           8
        .value_kind:     global_buffer
      - .address_space:  global
        .offset:         8
        .size:           8
        .value_kind:     global_buffer
      - .address_space:  global
        .offset:         16
        .size:           8
        .value_kind:     global_buffer
      - .offset:         24
        .size:           8
        .value_kind:     by_value
      - .offset:         32
        .size:           8
        .value_kind:     by_value
      - .offset:         40
        .size:           8
        .value_kind:     by_value
      - .offset:         48
        .size:           8
        .value_kind:     by_value
      - .offset:         56
        .size:           64
        .value_kind:     by_value
      - .offset:         120
        .size:           80
        .value_kind:     by_value
      - .offset:         200
        .size:           80
        .value_kind:     by_value
    .group_segment_fixed_size: 8208
    .kernarg_segment_align: 8
    .kernarg_segment_size: 280
    .language:       OpenCL C
    .language_version:
      - 2
      - 0
    .max_flat_workgroup_size: 1024
    .name:           KthvalueFwd
    .private_segment_fixed_size: 0
    .sgpr_count:     98
    .sgpr_spill_count: 0
    .symbol:         KthvalueFwd.kd
    .uniform_work_group_size: 1
    .uses_dynamic_stack: false
    .vgpr_count:     24
    .vgpr_spill_count: 0
    .wavefront_size: 64
amdhsa.target:   amdgcn-amd-amdhsa--gfx90a
amdhsa.version:
  - 1
  - 2
...

	.end_amdgpu_metadata
